;; amdgpu-corpus repo=ROCm/aiter kind=harvested arch=n/a opt=n/a

/root/src/amdgpu-assembly/repos/ROCm__aiter/hsa/gfx950/f4gemm/f4gemm_bf16_per1x32Fp4_BpreShuffle_32x128.co:	file format elf64-amdgpu

Disassembly of section .text:

0000000000002c00 <_ZN5aiter41f4gemm_bf16_per1x32Fp4_BpreShuffle_32x128E>:
	s_and_b32 s1, s1, 0xffff                                   // 000000002C00: 8601FF01 0000FFFF
	s_load_dwordx2 s[4:5], s[0:1], 0x0                         // 000000002C08: C0060100 00000000
	s_load_dwordx2 s[8:9], s[0:1], 0x10                        // 000000002C10: C0060200 00000010
	s_load_dwordx2 s[12:13], s[0:1], 0x20                      // 000000002C18: C0060300 00000020
	s_load_dwordx2 s[16:17], s[0:1], 0x30                      // 000000002C20: C0060400 00000030
	s_load_dword s41, s[0:1], 0x40                             // 000000002C28: C0020A40 00000040
	s_load_dword s42, s[0:1], 0x50                             // 000000002C30: C0020A80 00000050
	s_load_dword s36, s[0:1], 0x80                             // 000000002C38: C0020900 00000080
	s_load_dword s37, s[0:1], 0xa0                             // 000000002C40: C0020940 000000A0
	s_load_dword s38, s[0:1], 0xc0                             // 000000002C48: C0020980 000000C0
	s_load_dword s43, s[0:1], 0xe0                             // 000000002C50: C0020AC0 000000E0
	s_load_dword s44, s[0:1], 0xf0                             // 000000002C58: C0020B00 000000F0
	s_load_dword s45, s[0:1], 0x100                            // 000000002C60: C0020B40 00000100
	s_load_dwordx2 s[20:21], s[0:1], 0x110                     // 000000002C68: C0060500 00000110
	s_load_dwordx2 s[24:25], s[0:1], 0x120                     // 000000002C70: C0060600 00000120
	s_load_dword s39, s[0:1], 0x130                            // 000000002C78: C00209C0 00000130
	s_load_dword s40, s[0:1], 0x150                            // 000000002C80: C0020A00 00000150
	v_lshrrev_b32_e32 v1, 10, v0                               // 000000002C88: 2002008A
	v_lshrrev_b32_e32 v2, 10, v1                               // 000000002C8C: 2004028A
	v_and_b32_e32 v2, 0x3ff, v2                                // 000000002C90: 260404FF 000003FF
	v_and_b32_e32 v1, 0x3ff, v1                                // 000000002C98: 260202FF 000003FF
	v_and_b32_e32 v0, 0x3ff, v0                                // 000000002CA0: 260000FF 000003FF
	v_lshrrev_b32_e32 v3, 6, v0                                // 000000002CA8: 20060086
	v_and_b32_e32 v0, 63, v0                                   // 000000002CAC: 260000BF
	s_mov_b32 s47, s2                                          // 000000002CB0: BEAF0002
	s_mov_b32 s48, s3                                          // 000000002CB4: BEB00003
	v_readfirstlane_b32 s46, v3                                // 000000002CB8: 7E5C0503
	s_waitcnt lgkmcnt(0)                                       // 000000002CBC: BF8CC07F
	s_add_u32 s51, s44, 0x7f                                   // 000000002CC0: 8033FF2C 0000007F
	s_lshr_b32 s50, s51, 7                                     // 000000002CC8: 8F328733
	s_mul_i32 s49, s50, s48                                    // 000000002CCC: 92313032
	s_add_i32 s49, s49, s47                                    // 000000002CD0: 81312F31
	s_add_u32 s51, s43, 31                                     // 000000002CD4: 80339F2B
	s_lshr_b32 s62, s51, 5                                     // 000000002CD8: 8F3E8533
	s_lshl_b32 s62, s62, 5                                     // 000000002CDC: 8E3E853E
	s_mov_b32 s47, 0                                           // 000000002CE0: BEAF0080

0000000000002ce4 <label_0039>:
	s_cmp_lt_i32 s49, s62                                      // 000000002CE4: BF043E31
	s_cbranch_scc1 label_003E                                  // 000000002CE8: BF850003
	s_sub_i32 s49, s49, s62                                    // 000000002CEC: 81B13E31
	s_add_i32 s47, s47, 32                                     // 000000002CF0: 812FA02F
	s_branch label_0039                                        // 000000002CF4: BF82FFFB

0000000000002cf8 <label_003E>:
	s_sub_i32 s50, s50, s47                                    // 000000002CF8: 81B22F32
	s_cmp_lt_i32 s50, 32                                       // 000000002CFC: BF04A032
	s_cbranch_scc1 label_0044                                  // 000000002D00: BF850003
	s_lshr_b32 s48, s49, 5                                     // 000000002D04: 8F308531
	s_and_b32 s62, s49, 31                                     // 000000002D08: 863E9F31
	s_branch label_0064                                        // 000000002D0C: BF820020

0000000000002d10 <label_0044>:
	v_cvt_f32_u32_e32 v4, s50                                  // 000000002D10: 7E080C32
	s_sub_i32 s48, 0, s50                                      // 000000002D14: 81B03280
	v_rcp_iflag_f32_e32 v4, v4                                 // 000000002D18: 7E084704
	s_nop 0                                                    // 000000002D1C: BF800000
	v_mul_f32_e32 v4, 0x4f7ffffe, v4                           // 000000002D20: 0A0808FF 4F7FFFFE
	v_cvt_u32_f32_e32 v4, v4                                   // 000000002D28: 7E080F04
	v_mul_lo_u32 v5, s48, v4                                   // 000000002D2C: D2850005 00020830
	v_mul_hi_u32 v5, v4, v5                                    // 000000002D34: D2860005 00020B04
	v_add_u32_e32 v4, v4, v5                                   // 000000002D3C: 68080B04
	v_mul_hi_u32 v4, s49, v4                                   // 000000002D40: D2860004 00020831
	v_mul_lo_u32 v5, v4, s50                                   // 000000002D48: D2850005 00006504
	v_sub_u32_e32 v7, s49, v5                                  // 000000002D50: 6A0E0A31
	v_add_u32_e32 v6, 1, v4                                    // 000000002D54: 680C0881
	v_cmp_le_u32_e32 vcc, s50, v7                              // 000000002D58: 7D960E32
	v_subrev_u32_e32 v5, s50, v7                               // 000000002D5C: 6C0A0E32
	s_nop 0                                                    // 000000002D60: BF800000
	v_cndmask_b32_e32 v4, v4, v6, vcc                          // 000000002D64: 00080D04
	v_cndmask_b32_e32 v7, v7, v5, vcc                          // 000000002D68: 000E0B07
	v_add_u32_e32 v5, 1, v4                                    // 000000002D6C: 680A0881
	v_cmp_le_u32_e32 vcc, s50, v7                              // 000000002D70: 7D960E32
	s_nop 1                                                    // 000000002D74: BF800001
	v_cndmask_b32_e32 v7, v4, v5, vcc                          // 000000002D78: 000E0B04
	s_nop 3                                                    // 000000002D7C: BF800003
	v_readfirstlane_b32 s48, v7                                // 000000002D80: 7E600507
	s_nop 3                                                    // 000000002D84: BF800003
	s_mul_i32 s62, s50, s48                                    // 000000002D88: 923E3032
	s_sub_i32 s62, s49, s62                                    // 000000002D8C: 81BE3E31

0000000000002d90 <label_0064>:
	s_add_i32 s47, s62, s47                                    // 000000002D90: 812F2F3E
	s_lshr_b32 s37, s37, 1                                     // 000000002D94: 8F258125
	s_mul_i32 s62, s48, 32                                     // 000000002D98: 923EA030
	s_mul_hi_u32 s63, s37, s62                                 // 000000002D9C: 963F3E25
	s_add_u32 s13, s13, s63                                    // 000000002DA0: 800D3F0D
	s_mul_i32 s63, s37, s62                                    // 000000002DA4: 923F3E25
	s_add_u32 s12, s12, s63                                    // 000000002DA8: 800C3F0C
	s_addc_u32 s13, s13, 0                                     // 000000002DAC: 820D800D
	s_sub_i32 s63, s43, s62                                    // 000000002DB0: 81BF3E2B
	s_cmp_lt_u32 s63, 32                                       // 000000002DB4: BF0AA03F
	s_cselect_b32 s62, s63, 32                                 // 000000002DB8: 853EA03F
	s_mul_i32 s14, s37, s62                                    // 000000002DBC: 920E3E25
	s_mov_b32 s15, 0x20000                                     // 000000002DC0: BE8F00FF 00020000
	v_lshrrev_b32_e32 v4, 3, v0                                // 000000002DC8: 20080083
	v_lshrrev_b32_e32 v5, 2, v4                                // 000000002DCC: 200A0882
	v_lshlrev_b32_e32 v5, 4, v5                                // 000000002DD0: 240A0A84
	v_and_b32_e32 v4, 3, v4                                    // 000000002DD4: 26080883
	v_lshrrev_b32_e32 v6, 1, v4                                // 000000002DD8: 200C0881
	v_lshlrev_b32_e32 v6, 2, v6                                // 000000002DDC: 240C0C82
	v_add_u32_e32 v5, v5, v6                                   // 000000002DE0: 680A0D05
	v_and_b32_e32 v4, 1, v4                                    // 000000002DE4: 26080881
	v_add_u32_e32 v5, v5, v4                                   // 000000002DE8: 680A0905
	v_mul_lo_u32 v144, s37, v5                                 // 000000002DEC: D2850090 00020A25
	v_and_b32_e32 v4, 7, v0                                    // 000000002DF4: 26080087
	v_lshlrev_b32_e32 v4, 4, v4                                // 000000002DF8: 24080884
	v_add_u32_e32 v144, v4, v144                               // 000000002DFC: 69212104
	s_lshr_b32 s62, s46, 1                                     // 000000002E00: 8F3E812E
	s_mul_i32 s62, s62, 8                                      // 000000002E04: 923E883E
	s_and_b32 s63, s46, 1                                      // 000000002E08: 863F812E
	s_mul_i32 s63, s63, 2                                      // 000000002E0C: 923F823F
	s_add_u32 s62, s62, s63                                    // 000000002E10: 803E3F3E
	s_mul_i32 s62, s37, s62                                    // 000000002E14: 923E3E25
	v_add_u32_e32 v144, s62, v144                              // 000000002E18: 6921203E
	s_mul_i32 s64, 0x420, s46                                  // 000000002E1C: 92402EFF 00000420
	s_add_u32 s64, 0x1000, s64                                 // 000000002E24: 804040FF 00001000
	v_and_b32_e32 v4, 15, v0                                   // 000000002E2C: 2608008F
	v_lshrrev_b32_e32 v5, 3, v4                                // 000000002E30: 200A0883
	v_mul_i32_i24_e32 v5, 2, v5                                // 000000002E34: 0C0A0A82
	v_and_b32_e32 v4, 3, v0                                    // 000000002E38: 26080083
	v_lshrrev_b32_e32 v6, 1, v4                                // 000000002E3C: 200C0881
	v_add_u32_e32 v4, v5, v6                                   // 000000002E40: 68080D05
	v_mul_i32_i24_e32 v145, 0x420, v4                          // 000000002E44: 0D2208FF 00000420
	v_and_b32_e32 v4, 7, v0                                    // 000000002E4C: 26080087
	v_lshrrev_b32_e32 v5, 2, v4                                // 000000002E50: 200A0882
	v_mul_i32_i24_e32 v5, 0x100, v5                            // 000000002E54: 0C0A0AFF 00000100
	v_add_u32_e32 v145, v5, v145                               // 000000002E5C: 69232305
	v_and_b32_e32 v4, 1, v0                                    // 000000002E60: 26080081
	v_mul_i32_i24_e32 v6, 0x80, v4                             // 000000002E64: 0C0C08FF 00000080
	v_add_u32_e32 v145, v6, v145                               // 000000002E6C: 69232306
	v_lshrrev_b32_e32 v4, 4, v0                                // 000000002E70: 20080084
	v_mul_i32_i24_e32 v4, 16, v4                               // 000000002E74: 0C080890
	v_add_u32_e32 v145, v4, v145                               // 000000002E78: 69232304
	v_add_u32_e32 v145, 0x1000, v145                           // 000000002E7C: 692322FF 00001000
	v_add_u32_e32 v146, 0x1080, v145                           // 000000002E84: 692522FF 00001080
	v_add_u32_e32 v147, 0x1080, v146                           // 000000002E8C: 692724FF 00001080
	v_add_u32_e32 v148, 0x1080, v147                           // 000000002E94: 692926FF 00001080
	s_mul_i32 s62, s48, 32                                     // 000000002E9C: 923EA030
	s_mul_hi_u32 s63, s39, s62                                 // 000000002EA0: 963F3E27
	s_add_u32 s21, s21, s63                                    // 000000002EA4: 80153F15
	s_mul_i32 s63, s39, s62                                    // 000000002EA8: 923F3E27
	s_add_u32 s20, s20, s63                                    // 000000002EAC: 80143F14
	s_addc_u32 s21, s21, 0                                     // 000000002EB0: 82158015
	s_add_u32 s63, s43, 31                                     // 000000002EB4: 803F9F2B
	s_lshr_b32 s63, s63, 5                                     // 000000002EB8: 8F3F853F
	s_lshl_b32 s63, s63, 5                                     // 000000002EBC: 8E3F853F
	s_sub_i32 s63, s63, s62                                    // 000000002EC0: 81BF3E3F
	s_cmp_lt_u32 s63, 32                                       // 000000002EC4: BF0AA03F
	s_cselect_b32 s62, s63, 32                                 // 000000002EC8: 853EA03F
	s_mul_i32 s22, s39, s62                                    // 000000002ECC: 92163E27
	s_mov_b32 s23, 0x20000                                     // 000000002ED0: BE9700FF 00020000
	v_lshlrev_b32_e32 v149, 2, v0                              // 000000002ED8: 252A0082
	s_mul_i32 s63, s46, 32                                     // 000000002EDC: 923FA02E
	s_mul_i32 s63, s63, s39                                    // 000000002EE0: 923F273F
	v_add_u32_e32 v149, s63, v149                              // 000000002EE4: 692B2A3F
	s_mul_i32 s65, s46, 0x100                                  // 000000002EE8: 9241FF2E 00000100
	s_add_i32 s65, s65, 0                                      // 000000002EF0: 81418041
	v_lshlrev_b32_e32 v150, 2, v0                              // 000000002EF4: 252C0082
	v_add_u32_e32 v150, 0, v150                                // 000000002EF8: 692D2C80
	s_lshr_b32 s38, s38, 1                                     // 000000002EFC: 8F268126
	s_mul_i32 s62, s47, 0x80                                   // 000000002F00: 923EFF2F 00000080
	s_mul_hi_u32 s63, s38, s62                                 // 000000002F08: 963F3E26
	s_add_u32 s17, s17, s63                                    // 000000002F0C: 80113F11
	s_mul_i32 s63, s38, s62                                    // 000000002F10: 923F3E26
	s_add_u32 s16, s16, s63                                    // 000000002F14: 80103F10
	s_addc_u32 s17, s17, 0                                     // 000000002F18: 82118011
	s_sub_i32 s63, s44, s62                                    // 000000002F1C: 81BF3E2C
	s_cmp_lt_u32 s63, 0x80                                     // 000000002F20: BF0AFF3F 00000080
	s_cselect_b32 s62, s63, 0x80                               // 000000002F28: 853EFF3F 00000080
	s_mul_i32 s18, s38, s62                                    // 000000002F30: 92123E26
	s_mov_b32 s19, 0x20000                                     // 000000002F34: BE9300FF 00020000
	v_lshlrev_b32_e32 v151, 4, v0                              // 000000002F3C: 252E0084
	s_mul_i32 s63, s46, 32                                     // 000000002F40: 923FA02E
	s_mul_i32 s62, s63, s38                                    // 000000002F44: 923E263F
	v_add_u32_e32 v151, s62, v151                              // 000000002F48: 692F2E3E
	s_mul_i32 s62, 16, s38                                     // 000000002F4C: 923E2690
	v_add_u32_e32 v152, s62, v151                              // 000000002F50: 69312E3E
	s_mul_i32 s62, s47, 0x80                                   // 000000002F54: 923EFF2F 00000080
	s_mul_hi_u32 s63, s40, s62                                 // 000000002F5C: 963F3E28
	s_add_u32 s25, s25, s63                                    // 000000002F60: 80193F19
	s_mul_i32 s63, s40, s62                                    // 000000002F64: 923F3E28
	s_add_u32 s24, s24, s63                                    // 000000002F68: 80183F18
	s_addc_u32 s25, s25, 0                                     // 000000002F6C: 82198019
	s_sub_i32 s63, s44, s62                                    // 000000002F70: 81BF3E2C
	s_cmp_lt_u32 s63, 0x80                                     // 000000002F74: BF0AFF3F 00000080
	s_cselect_b32 s62, s63, 0x80                               // 000000002F7C: 853EFF3F 00000080
	s_mul_i32 s26, s40, s62                                    // 000000002F84: 921A3E28
	s_mov_b32 s27, 0x20000                                     // 000000002F88: BE9B00FF 00020000
	v_lshlrev_b32_e32 v153, 2, v0                              // 000000002F90: 25320082
	s_mul_i32 s63, s46, 32                                     // 000000002F94: 923FA02E
	s_mul_i32 s63, s63, s40                                    // 000000002F98: 923F283F
	v_add_u32_e32 v153, s63, v153                              // 000000002F9C: 6933323F
	s_mov_b32 s66, 0x80                                        // 000000002FA0: BEC200FF 00000080
	s_mov_b32 s67, 0x800                                       // 000000002FA8: BEC300FF 00000800
	s_mov_b32 s68, 0x100                                       // 000000002FB0: BEC400FF 00000100
	s_mov_b32 s69, 0x100                                       // 000000002FB8: BEC500FF 00000100
	s_mov_b32 s60, 0                                           // 000000002FC0: BEBC0080
	s_mov_b32 s61, s45                                         // 000000002FC4: BEBD002D
	s_add_u32 m0, 0, s65                                       // 000000002FC8: 807C4180
	buffer_load_dword v149, s[20:23], 0 offen lds              // 000000002FCC: E0511000 80050095
	v_accvgpr_write_b32 a0, 0                                  // 000000002FD4: D3D94000 18000080
	v_accvgpr_write_b32 a1, 0                                  // 000000002FDC: D3D94001 18000080
	v_accvgpr_write_b32 a2, 0                                  // 000000002FE4: D3D94002 18000080
	v_accvgpr_write_b32 a3, 0                                  // 000000002FEC: D3D94003 18000080
	v_accvgpr_write_b32 a4, 0                                  // 000000002FF4: D3D94004 18000080
	v_accvgpr_write_b32 a5, 0                                  // 000000002FFC: D3D94005 18000080
	s_add_u32 m0, 0, s64                                       // 000000003004: 807C4080
	buffer_load_dwordx4 v144, s[12:15], 0 offen lds            // 000000003008: E05D1000 80030090
	v_accvgpr_write_b32 a6, 0                                  // 000000003010: D3D94006 18000080
	v_accvgpr_write_b32 a7, 0                                  // 000000003018: D3D94007 18000080
	v_accvgpr_write_b32 a8, 0                                  // 000000003020: D3D94008 18000080
	v_accvgpr_write_b32 a9, 0                                  // 000000003028: D3D94009 18000080
	v_accvgpr_write_b32 a10, 0                                 // 000000003030: D3D9400A 18000080
	v_accvgpr_write_b32 a11, 0                                 // 000000003038: D3D9400B 18000080
	s_add_u32 s62, 0x100, s60                                  // 000000003040: 803E3CFF 00000100
	s_cmp_lt_u32 s62, s61                                      // 000000003048: BF0A3D3E
	s_cselect_b32 s66, s66, 0                                  // 00000000304C: 85428042
	s_cselect_b32 s68, s68, 0                                  // 000000003050: 85448044
	s_add_u32 s12, s12, s66                                    // 000000003054: 800C420C
	s_addc_u32 s13, 0, s13                                     // 000000003058: 820D0D80
	s_sub_u32 s14, s14, s66                                    // 00000000305C: 808E420E
	s_add_u32 s20, s20, s68                                    // 000000003060: 80144414
	s_addc_u32 s21, 0, s21                                     // 000000003064: 82151580
	s_sub_u32 s22, s22, s68                                    // 000000003068: 80964416
	s_add_u32 m0, 0x400, s65                                   // 00000000306C: 807C41FF 00000400
	buffer_load_dword v149, s[20:23], 0 offen lds              // 000000003074: E0511000 80050095
	v_accvgpr_write_b32 a12, 0                                 // 00000000307C: D3D9400C 18000080
	v_accvgpr_write_b32 a13, 0                                 // 000000003084: D3D9400D 18000080
	v_accvgpr_write_b32 a14, 0                                 // 00000000308C: D3D9400E 18000080
	v_accvgpr_write_b32 a15, 0                                 // 000000003094: D3D9400F 18000080
	s_add_u32 m0, 0x1080, s64                                  // 00000000309C: 807C40FF 00001080
	buffer_load_dwordx4 v144, s[12:15], 0 offen lds            // 0000000030A4: E05D1000 80030090
	buffer_load_dwordx4 v[72:75], v151, s[16:19], 0 offen      // 0000000030AC: E05C1000 80044897
	buffer_load_dwordx4 v[76:79], v152, s[16:19], 0 offen      // 0000000030B4: E05C1000 80044C98
	buffer_load_dwordx4 v[80:83], v151, s[16:19], 0 offen offset:1024// 0000000030BC: E05C1400 80045097
	buffer_load_dwordx4 v[84:87], v152, s[16:19], 0 offen offset:1024// 0000000030C4: E05C1400 80045498
	buffer_load_dword v140, v153, s[24:27], 0 offen            // 0000000030CC: E0501000 80068C99
	s_add_u32 s62, 0x200, s60                                  // 0000000030D4: 803E3CFF 00000200
	s_cmp_lt_u32 s62, s61                                      // 0000000030DC: BF0A3D3E
	s_cselect_b32 s66, s66, 0                                  // 0000000030E0: 85428042
	s_cselect_b32 s68, s68, 0                                  // 0000000030E4: 85448044
	s_add_u32 s12, s12, s66                                    // 0000000030E8: 800C420C
	s_addc_u32 s13, 0, s13                                     // 0000000030EC: 820D0D80
	s_sub_u32 s14, s14, s66                                    // 0000000030F0: 808E420E
	s_add_u32 s20, s20, s68                                    // 0000000030F4: 80144414
	s_addc_u32 s21, 0, s21                                     // 0000000030F8: 82151580
	s_sub_u32 s22, s22, s68                                    // 0000000030FC: 80964416
	s_add_u32 s63, 0x100, s60                                  // 000000003100: 803F3CFF 00000100
	s_cmp_lt_u32 s63, s61                                      // 000000003108: BF0A3D3F
	s_cselect_b32 s67, s67, 0                                  // 00000000310C: 85438043
	s_cselect_b32 s69, s69, 0                                  // 000000003110: 85458045
	s_add_u32 s16, s16, s67                                    // 000000003114: 80104310
	s_addc_u32 s17, 0, s17                                     // 000000003118: 82111180
	s_sub_u32 s18, s18, s67                                    // 00000000311C: 80924312
	s_add_u32 s24, s24, s69                                    // 000000003120: 80184518
	s_addc_u32 s25, 0, s25                                     // 000000003124: 82191980
	s_sub_u32 s26, s26, s69                                    // 000000003128: 809A451A
	s_add_u32 m0, 0x800, s65                                   // 00000000312C: 807C41FF 00000800
	buffer_load_dword v149, s[20:23], 0 offen lds              // 000000003134: E0511000 80050095
	s_add_u32 m0, 0x2100, s64                                  // 00000000313C: 807C40FF 00002100
	buffer_load_dwordx4 v144, s[12:15], 0 offen lds            // 000000003144: E05D1000 80030090
	buffer_load_dwordx4 v[88:91], v151, s[16:19], 0 offen      // 00000000314C: E05C1000 80045897
	buffer_load_dwordx4 v[92:95], v152, s[16:19], 0 offen      // 000000003154: E05C1000 80045C98
	buffer_load_dwordx4 v[96:99], v151, s[16:19], 0 offen offset:1024// 00000000315C: E05C1400 80046097
	buffer_load_dwordx4 v[100:103], v152, s[16:19], 0 offen offset:1024// 000000003164: E05C1400 80046498
	buffer_load_dword v141, v153, s[24:27], 0 offen            // 00000000316C: E0501000 80068D99
	s_add_u32 s62, 0x300, s60                                  // 000000003174: 803E3CFF 00000300
	s_cmp_lt_u32 s62, s61                                      // 00000000317C: BF0A3D3E
	s_cselect_b32 s66, s66, 0                                  // 000000003180: 85428042
	s_cselect_b32 s68, s68, 0                                  // 000000003184: 85448044
	s_add_u32 s12, s12, s66                                    // 000000003188: 800C420C
	s_addc_u32 s13, 0, s13                                     // 00000000318C: 820D0D80
	s_sub_u32 s14, s14, s66                                    // 000000003190: 808E420E
	s_add_u32 s20, s20, s68                                    // 000000003194: 80144414
	s_addc_u32 s21, 0, s21                                     // 000000003198: 82151580
	s_sub_u32 s22, s22, s68                                    // 00000000319C: 80964416
	s_add_u32 s63, 0x200, s60                                  // 0000000031A0: 803F3CFF 00000200
	s_cmp_lt_u32 s63, s61                                      // 0000000031A8: BF0A3D3F
	s_cselect_b32 s67, s67, 0                                  // 0000000031AC: 85438043
	s_cselect_b32 s69, s69, 0                                  // 0000000031B0: 85458045
	s_add_u32 s16, s16, s67                                    // 0000000031B4: 80104310
	s_addc_u32 s17, 0, s17                                     // 0000000031B8: 82111180
	s_sub_u32 s18, s18, s67                                    // 0000000031BC: 80924312
	s_add_u32 s24, s24, s69                                    // 0000000031C0: 80184518
	s_addc_u32 s25, 0, s25                                     // 0000000031C4: 82191980
	s_sub_u32 s26, s26, s69                                    // 0000000031C8: 809A451A
	s_add_u32 m0, 0xc00, s65                                   // 0000000031CC: 807C41FF 00000C00
	buffer_load_dword v149, s[20:23], 0 offen lds              // 0000000031D4: E0511000 80050095
	s_add_u32 m0, 0x3180, s64                                  // 0000000031DC: 807C40FF 00003180
	buffer_load_dwordx4 v144, s[12:15], 0 offen lds            // 0000000031E4: E05D1000 80030090
	buffer_load_dwordx4 v[104:107], v151, s[16:19], 0 offen    // 0000000031EC: E05C1000 80046897
	buffer_load_dwordx4 v[108:111], v152, s[16:19], 0 offen    // 0000000031F4: E05C1000 80046C98
	buffer_load_dwordx4 v[112:115], v151, s[16:19], 0 offen offset:1024// 0000000031FC: E05C1400 80047097
	buffer_load_dwordx4 v[116:119], v152, s[16:19], 0 offen offset:1024// 000000003204: E05C1400 80047498
	buffer_load_dword v142, v153, s[24:27], 0 offen            // 00000000320C: E0501000 80068E99
	s_add_u32 s62, 0x400, s60                                  // 000000003214: 803E3CFF 00000400
	s_cmp_lt_u32 s62, s61                                      // 00000000321C: BF0A3D3E
	s_cselect_b32 s66, s66, 0                                  // 000000003220: 85428042
	s_cselect_b32 s68, s68, 0                                  // 000000003224: 85448044
	s_add_u32 s12, s12, s66                                    // 000000003228: 800C420C
	s_addc_u32 s13, 0, s13                                     // 00000000322C: 820D0D80
	s_sub_u32 s14, s14, s66                                    // 000000003230: 808E420E
	s_add_u32 s20, s20, s68                                    // 000000003234: 80144414
	s_addc_u32 s21, 0, s21                                     // 000000003238: 82151580
	s_sub_u32 s22, s22, s68                                    // 00000000323C: 80964416
	s_add_u32 s63, 0x300, s60                                  // 000000003240: 803F3CFF 00000300
	s_cmp_lt_u32 s63, s61                                      // 000000003248: BF0A3D3F
	s_cselect_b32 s67, s67, 0                                  // 00000000324C: 85438043
	s_cselect_b32 s69, s69, 0                                  // 000000003250: 85458045
	s_add_u32 s16, s16, s67                                    // 000000003254: 80104310
	s_addc_u32 s17, 0, s17                                     // 000000003258: 82111180
	s_sub_u32 s18, s18, s67                                    // 00000000325C: 80924312
	s_add_u32 s24, s24, s69                                    // 000000003260: 80184518
	s_addc_u32 s25, 0, s25                                     // 000000003264: 82191980
	s_sub_u32 s26, s26, s69                                    // 000000003268: 809A451A
	s_waitcnt vmcnt(19)                                        // 00000000326C: BF8C4F73
	s_barrier                                                  // 000000003270: BF8A0000
	ds_read_b128 v[8:11], v145                                 // 000000003274: D9FE0000 08000091
	ds_read_b128 v[16:19], v145 offset:64                      // 00000000327C: D9FE0040 10000091
	ds_read_b128 v[12:15], v145 offset:512                     // 000000003284: D9FE0200 0C000091
	ds_read_b128 v[20:23], v145 offset:576                     // 00000000328C: D9FE0240 14000091
	ds_read_b32 v136, v150                                     // 000000003294: D86C0000 88000096
	ds_read_b128 v[24:27], v146                                // 00000000329C: D9FE0000 18000092
	ds_read_b128 v[32:35], v146 offset:64                      // 0000000032A4: D9FE0040 20000092
	ds_read_b128 v[28:31], v146 offset:512                     // 0000000032AC: D9FE0200 1C000092
	ds_read_b128 v[36:39], v146 offset:576                     // 0000000032B4: D9FE0240 24000092
	ds_read_b32 v137, v150 offset:1024                         // 0000000032BC: D86C0400 89000096
	s_nop 0                                                    // 0000000032C4: BF800000
	s_nop 0                                                    // 0000000032C8: BF800000
	s_nop 0                                                    // 0000000032CC: BF800000
	s_nop 0                                                    // 0000000032D0: BF800000
	s_nop 0                                                    // 0000000032D4: BF800000
	s_lshl_b32 s36, s36, 1                                     // 0000000032D8: 8E248124
	s_mul_i32 s62, s48, 32                                     // 0000000032DC: 923EA030
	s_mul_hi_u32 s63, s36, s62                                 // 0000000032E0: 963F3E24
	s_add_u32 s5, s5, s63                                      // 0000000032E4: 80053F05
	s_mul_i32 s63, s36, s62                                    // 0000000032E8: 923F3E24
	s_add_u32 s4, s4, s63                                      // 0000000032EC: 80043F04
	s_addc_u32 s5, s5, 0                                       // 0000000032F0: 82058005
	s_mul_i32 s63, s47, 0x80                                   // 0000000032F4: 923FFF2F 00000080
	s_lshl_b32 s63, s63, 1                                     // 0000000032FC: 8E3F813F
	s_add_u32 s4, s4, s63                                      // 000000003300: 80043F04
	s_addc_u32 s5, s5, 0                                       // 000000003304: 82058005
	s_sub_i32 s62, s43, s62                                    // 000000003308: 81BE3E2B
	s_cmp_lt_u32 s62, 32                                       // 00000000330C: BF0AA03E
	s_cselect_b32 s62, s62, 32                                 // 000000003310: 853EA03E
	s_mul_i32 s62, s36, s62                                    // 000000003314: 923E3E24
	s_sub_i32 s6, s62, s63                                     // 000000003318: 81863F3E
	s_mov_b32 s7, 0x20000                                      // 00000000331C: BE8700FF 00020000
	s_mul_i32 s62, s46, 32                                     // 000000003324: 923EA02E
	s_lshl_b32 s62, s62, 1                                     // 000000003328: 8E3E813E
	v_lshrrev_b32_e32 v4, 5, v0                                // 00000000332C: 20080085
	v_mul_i32_i24_e32 v4, 16, v4                               // 000000003330: 0C080890
	v_lshrrev_b32_e32 v5, 4, v0                                // 000000003334: 200A0084
	v_and_b32_e32 v5, 1, v5                                    // 000000003338: 260A0A81
	v_mul_i32_i24_e32 v5, 32, v5                               // 00000000333C: 0C0A0AA0
	v_add_u32_e32 v4, v4, v5                                   // 000000003340: 68080B04
	v_and_b32_e32 v5, 15, v0                                   // 000000003344: 260A008F
	v_mul_lo_u32 v154, s36, v5                                 // 000000003348: D285009A 00020A24
	v_add_u32_e32 v154, s62, v154                              // 000000003350: 6935343E
	v_add_u32_e32 v154, v4, v154                               // 000000003354: 69353504
	s_cmp_lt_i32 s46, 2                                        // 000000003358: BF04822E
	s_cbranch_scc0 label_0333                                  // 00000000335C: BF84015B

0000000000003360 <label_01D8>:
	s_waitcnt vmcnt(12) lgkmcnt(5)                             // 000000003360: BF8C057C
	s_barrier                                                  // 000000003364: BF8A0000
	v_mfma_scale_f32_16x16x128_f8f6f4 a[0:3], v[72:75], v[8:11], a[0:3], v140, v136 op_sel_hi:[0,0,0] cbsz:4 blgp:4// 000000003368: D3AC6000 0003118C D3AD8C00 84021148
	ds_read_b128 v[40:43], v147                                // 000000003378: D9FE0000 28000093
	v_mfma_scale_f32_16x16x128_f8f6f4 a[4:7], v[72:75], v[12:15], a[4:7], v140, v136 op_sel_hi:[0,0,0] cbsz:4 blgp:4// 000000003380: D3AC7000 0003118C D3AD8C04 84121948
	s_add_u32 m0, 0, s65                                       // 000000003390: 807C4180
	buffer_load_dword v149, s[20:23], 0 offen lds              // 000000003394: E0511000 80050095
	v_mfma_scale_f32_16x16x128_f8f6f4 a[8:11], v[76:79], v[8:11], a[8:11], v140, v136 op_sel_hi:[0,0,0] cbsz:4 blgp:4// 00000000339C: D3AC6800 0003118C D3AD8C08 8422114C
	ds_read_b128 v[48:51], v147 offset:64                      // 0000000033AC: D9FE0040 30000093
	v_mfma_scale_f32_16x16x128_f8f6f4 a[12:15], v[76:79], v[12:15], a[12:15], v140, v136 op_sel_hi:[0,0,0] cbsz:4 blgp:4// 0000000033B4: D3AC7800 0003118C D3AD8C0C 8432194C
	s_add_u32 m0, 0, s64                                       // 0000000033C4: 807C4080
	buffer_load_dwordx4 v144, s[12:15], 0 offen lds            // 0000000033C8: E05D1000 80030090
	v_mfma_scale_f32_16x16x128_f8f6f4 a[0:3], v[80:83], v[16:19], a[0:3], v140, v136 op_sel_hi:[0,0,0] cbsz:4 blgp:4// 0000000033D0: D3AC6000 1803118C D3AD8C00 84022150
	s_add_u32 s62, 0x500, s60                                  // 0000000033E0: 803E3CFF 00000500
	ds_read_b128 v[44:47], v147 offset:512                     // 0000000033E8: D9FE0200 2C000093
	v_mfma_scale_f32_16x16x128_f8f6f4 a[4:7], v[80:83], v[20:23], a[4:7], v140, v136 op_sel_hi:[0,0,0] cbsz:4 blgp:4// 0000000033F0: D3AC7000 1803118C D3AD8C04 84122950
	s_cmp_lt_u32 s62, s61                                      // 000000003400: BF0A3D3E
	buffer_load_dwordx4 v[120:123], v151, s[16:19], 0 offen    // 000000003404: E05C1000 80047897
	v_mfma_scale_f32_16x16x128_f8f6f4 a[8:11], v[84:87], v[16:19], a[8:11], v140, v136 op_sel_hi:[0,0,0] cbsz:4 blgp:4// 00000000340C: D3AC6800 1803118C D3AD8C08 84222154
	s_cselect_b32 s66, s66, 0                                  // 00000000341C: 85428042
	ds_read_b128 v[52:55], v147 offset:576                     // 000000003420: D9FE0240 34000093
	v_mfma_scale_f32_16x16x128_f8f6f4 a[12:15], v[84:87], v[20:23], a[12:15], v140, v136 op_sel_hi:[0,0,0] cbsz:4 blgp:4// 000000003428: D3AC7800 1803118C D3AD8C0C 84322954
	s_cselect_b32 s68, s68, 0                                  // 000000003438: 85448044
	buffer_load_dwordx4 v[124:127], v152, s[16:19], 0 offen    // 00000000343C: E05C1000 80047C98
	ds_read_b32 v138, v150 offset:2048                         // 000000003444: D86C0800 8A000096
	s_add_u32 s12, s12, s66                                    // 00000000344C: 800C420C
	s_addc_u32 s13, 0, s13                                     // 000000003450: 820D0D80
	buffer_load_dwordx4 v[128:131], v151, s[16:19], 0 offen offset:1024// 000000003454: E05C1400 80048097
	s_sub_u32 s14, s14, s66                                    // 00000000345C: 808E420E
	s_add_u32 s20, s20, s68                                    // 000000003460: 80144414
	buffer_load_dwordx4 v[132:135], v152, s[16:19], 0 offen offset:1024// 000000003464: E05C1400 80048498
	s_addc_u32 s21, 0, s21                                     // 00000000346C: 82151580
	s_sub_u32 s22, s22, s68                                    // 000000003470: 80964416
	buffer_load_dword v143, v153, s[24:27], 0 offen            // 000000003474: E0501000 80068F99
	s_add_u32 s63, 0x400, s60                                  // 00000000347C: 803F3CFF 00000400
	s_cmp_lt_u32 s63, s61                                      // 000000003484: BF0A3D3F
	s_cselect_b32 s67, s67, 0                                  // 000000003488: 85438043
	s_cselect_b32 s69, s69, 0                                  // 00000000348C: 85458045
	s_add_u32 s16, s16, s67                                    // 000000003490: 80104310
	s_addc_u32 s17, 0, s17                                     // 000000003494: 82111180
	s_sub_u32 s18, s18, s67                                    // 000000003498: 80924312
	s_add_u32 s24, s24, s69                                    // 00000000349C: 80184518
	s_addc_u32 s25, 0, s25                                     // 0000000034A0: 82191980
	s_sub_u32 s26, s26, s69                                    // 0000000034A4: 809A451A
	s_addk_i32 s60, 0x100                                      // 0000000034A8: B73C0100
	s_cmp_lt_i32 s60, s61                                      // 0000000034AC: BF043D3C
	s_cbranch_scc0 label_048E                                  // 0000000034B0: BF840261
	s_waitcnt vmcnt(12) lgkmcnt(5)                             // 0000000034B4: BF8C057C
	s_barrier                                                  // 0000000034B8: BF8A0000
	v_mfma_scale_f32_16x16x128_f8f6f4 a[0:3], v[88:91], v[24:27], a[0:3], v141, v137 op_sel_hi:[0,0,0] cbsz:4 blgp:4// 0000000034BC: D3AC6000 0003138D D3AD8C00 84023158
	ds_read_b128 v[56:59], v148                                // 0000000034CC: D9FE0000 38000094
	v_mfma_scale_f32_16x16x128_f8f6f4 a[4:7], v[88:91], v[28:31], a[4:7], v141, v137 op_sel_hi:[0,0,0] cbsz:4 blgp:4// 0000000034D4: D3AC7000 0003138D D3AD8C04 84123958
	s_add_u32 m0, 0x400, s65                                   // 0000000034E4: 807C41FF 00000400
	buffer_load_dword v149, s[20:23], 0 offen lds              // 0000000034EC: E0511000 80050095
	v_mfma_scale_f32_16x16x128_f8f6f4 a[8:11], v[92:95], v[24:27], a[8:11], v141, v137 op_sel_hi:[0,0,0] cbsz:4 blgp:4// 0000000034F4: D3AC6800 0003138D D3AD8C08 8422315C
	ds_read_b128 v[64:67], v148 offset:64                      // 000000003504: D9FE0040 40000094
	v_mfma_scale_f32_16x16x128_f8f6f4 a[12:15], v[92:95], v[28:31], a[12:15], v141, v137 op_sel_hi:[0,0,0] cbsz:4 blgp:4// 00000000350C: D3AC7800 0003138D D3AD8C0C 8432395C
	s_add_u32 m0, 0x1080, s64                                  // 00000000351C: 807C40FF 00001080
	buffer_load_dwordx4 v144, s[12:15], 0 offen lds            // 000000003524: E05D1000 80030090
	v_mfma_scale_f32_16x16x128_f8f6f4 a[0:3], v[96:99], v[32:35], a[0:3], v141, v137 op_sel_hi:[0,0,0] cbsz:4 blgp:4// 00000000352C: D3AC6000 1803138D D3AD8C00 84024160
	s_add_u32 s62, 0x500, s60                                  // 00000000353C: 803E3CFF 00000500
	ds_read_b128 v[60:63], v148 offset:512                     // 000000003544: D9FE0200 3C000094
	v_mfma_scale_f32_16x16x128_f8f6f4 a[4:7], v[96:99], v[36:39], a[4:7], v141, v137 op_sel_hi:[0,0,0] cbsz:4 blgp:4// 00000000354C: D3AC7000 1803138D D3AD8C04 84124960
	s_cmp_lt_u32 s62, s61                                      // 00000000355C: BF0A3D3E
	buffer_load_dwordx4 v[72:75], v151, s[16:19], 0 offen      // 000000003560: E05C1000 80044897
	v_mfma_scale_f32_16x16x128_f8f6f4 a[8:11], v[100:103], v[32:35], a[8:11], v141, v137 op_sel_hi:[0,0,0] cbsz:4 blgp:4// 000000003568: D3AC6800 1803138D D3AD8C08 84224164
	s_cselect_b32 s66, s66, 0                                  // 000000003578: 85428042
	ds_read_b128 v[68:71], v148 offset:576                     // 00000000357C: D9FE0240 44000094
	v_mfma_scale_f32_16x16x128_f8f6f4 a[12:15], v[100:103], v[36:39], a[12:15], v141, v137 op_sel_hi:[0,0,0] cbsz:4 blgp:4// 000000003584: D3AC7800 1803138D D3AD8C0C 84324964
	s_cselect_b32 s68, s68, 0                                  // 000000003594: 85448044
	buffer_load_dwordx4 v[76:79], v152, s[16:19], 0 offen      // 000000003598: E05C1000 80044C98
	ds_read_b32 v139, v150 offset:3072                         // 0000000035A0: D86C0C00 8B000096
	s_add_u32 s12, s12, s66                                    // 0000000035A8: 800C420C
	s_addc_u32 s13, 0, s13                                     // 0000000035AC: 820D0D80
	buffer_load_dwordx4 v[80:83], v151, s[16:19], 0 offen offset:1024// 0000000035B0: E05C1400 80045097
	s_sub_u32 s14, s14, s66                                    // 0000000035B8: 808E420E
	s_add_u32 s20, s20, s68                                    // 0000000035BC: 80144414
	buffer_load_dwordx4 v[84:87], v152, s[16:19], 0 offen offset:1024// 0000000035C0: E05C1400 80045498
	s_addc_u32 s21, 0, s21                                     // 0000000035C8: 82151580
	s_sub_u32 s22, s22, s68                                    // 0000000035CC: 80964416
	buffer_load_dword v140, v153, s[24:27], 0 offen            // 0000000035D0: E0501000 80068C99
	s_add_u32 s63, 0x400, s60                                  // 0000000035D8: 803F3CFF 00000400
	s_cmp_lt_u32 s63, s61                                      // 0000000035E0: BF0A3D3F
	s_cselect_b32 s67, s67, 0                                  // 0000000035E4: 85438043
	s_cselect_b32 s69, s69, 0                                  // 0000000035E8: 85458045
	s_add_u32 s16, s16, s67                                    // 0000000035EC: 80104310
	s_addc_u32 s17, 0, s17                                     // 0000000035F0: 82111180
	s_sub_u32 s18, s18, s67                                    // 0000000035F4: 80924312
	s_add_u32 s24, s24, s69                                    // 0000000035F8: 80184518
	s_addc_u32 s25, 0, s25                                     // 0000000035FC: 82191980
	s_sub_u32 s26, s26, s69                                    // 000000003600: 809A451A
	s_addk_i32 s60, 0x100                                      // 000000003604: B73C0100
	s_cmp_lt_i32 s60, s61                                      // 000000003608: BF043D3C
	s_cbranch_scc0 label_048E                                  // 00000000360C: BF84020A
	s_waitcnt vmcnt(12) lgkmcnt(5)                             // 000000003610: BF8C057C
	s_barrier                                                  // 000000003614: BF8A0000
	v_mfma_scale_f32_16x16x128_f8f6f4 a[0:3], v[104:107], v[40:43], a[0:3], v142, v138 op_sel_hi:[0,0,0] cbsz:4 blgp:4// 000000003618: D3AC6000 0003158E D3AD8C00 84025168
	ds_read_b128 v[8:11], v145                                 // 000000003628: D9FE0000 08000091
	v_mfma_scale_f32_16x16x128_f8f6f4 a[4:7], v[104:107], v[44:47], a[4:7], v142, v138 op_sel_hi:[0,0,0] cbsz:4 blgp:4// 000000003630: D3AC7000 0003158E D3AD8C04 84125968
	s_add_u32 m0, 0x800, s65                                   // 000000003640: 807C41FF 00000800
	buffer_load_dword v149, s[20:23], 0 offen lds              // 000000003648: E0511000 80050095
	v_mfma_scale_f32_16x16x128_f8f6f4 a[8:11], v[108:111], v[40:43], a[8:11], v142, v138 op_sel_hi:[0,0,0] cbsz:4 blgp:4// 000000003650: D3AC6800 0003158E D3AD8C08 8422516C
	ds_read_b128 v[16:19], v145 offset:64                      // 000000003660: D9FE0040 10000091
	v_mfma_scale_f32_16x16x128_f8f6f4 a[12:15], v[108:111], v[44:47], a[12:15], v142, v138 op_sel_hi:[0,0,0] cbsz:4 blgp:4// 000000003668: D3AC7800 0003158E D3AD8C0C 8432596C
	s_add_u32 m0, 0x2100, s64                                  // 000000003678: 807C40FF 00002100
	buffer_load_dwordx4 v144, s[12:15], 0 offen lds            // 000000003680: E05D1000 80030090
	v_mfma_scale_f32_16x16x128_f8f6f4 a[0:3], v[112:115], v[48:51], a[0:3], v142, v138 op_sel_hi:[0,0,0] cbsz:4 blgp:4// 000000003688: D3AC6000 1803158E D3AD8C00 84026170
	s_add_u32 s62, 0x500, s60                                  // 000000003698: 803E3CFF 00000500
	ds_read_b128 v[12:15], v145 offset:512                     // 0000000036A0: D9FE0200 0C000091
	v_mfma_scale_f32_16x16x128_f8f6f4 a[4:7], v[112:115], v[52:55], a[4:7], v142, v138 op_sel_hi:[0,0,0] cbsz:4 blgp:4// 0000000036A8: D3AC7000 1803158E D3AD8C04 84126970
	s_cmp_lt_u32 s62, s61                                      // 0000000036B8: BF0A3D3E
	buffer_load_dwordx4 v[88:91], v151, s[16:19], 0 offen      // 0000000036BC: E05C1000 80045897
	v_mfma_scale_f32_16x16x128_f8f6f4 a[8:11], v[116:119], v[48:51], a[8:11], v142, v138 op_sel_hi:[0,0,0] cbsz:4 blgp:4// 0000000036C4: D3AC6800 1803158E D3AD8C08 84226174
	s_cselect_b32 s66, s66, 0                                  // 0000000036D4: 85428042
	ds_read_b128 v[20:23], v145 offset:576                     // 0000000036D8: D9FE0240 14000091
	v_mfma_scale_f32_16x16x128_f8f6f4 a[12:15], v[116:119], v[52:55], a[12:15], v142, v138 op_sel_hi:[0,0,0] cbsz:4 blgp:4// 0000000036E0: D3AC7800 1803158E D3AD8C0C 84326974
	s_cselect_b32 s68, s68, 0                                  // 0000000036F0: 85448044
	buffer_load_dwordx4 v[92:95], v152, s[16:19], 0 offen      // 0000000036F4: E05C1000 80045C98
	ds_read_b32 v136, v150                                     // 0000000036FC: D86C0000 88000096
	s_add_u32 s12, s12, s66                                    // 000000003704: 800C420C
	s_addc_u32 s13, 0, s13                                     // 000000003708: 820D0D80
	buffer_load_dwordx4 v[96:99], v151, s[16:19], 0 offen offset:1024// 00000000370C: E05C1400 80046097
	s_sub_u32 s14, s14, s66                                    // 000000003714: 808E420E
	s_add_u32 s20, s20, s68                                    // 000000003718: 80144414
	buffer_load_dwordx4 v[100:103], v152, s[16:19], 0 offen offset:1024// 00000000371C: E05C1400 80046498
	s_addc_u32 s21, 0, s21                                     // 000000003724: 82151580
	s_sub_u32 s22, s22, s68                                    // 000000003728: 80964416
	buffer_load_dword v141, v153, s[24:27], 0 offen            // 00000000372C: E0501000 80068D99
	s_add_u32 s63, 0x400, s60                                  // 000000003734: 803F3CFF 00000400
	s_cmp_lt_u32 s63, s61                                      // 00000000373C: BF0A3D3F
	s_cselect_b32 s67, s67, 0                                  // 000000003740: 85438043
	s_cselect_b32 s69, s69, 0                                  // 000000003744: 85458045
	s_add_u32 s16, s16, s67                                    // 000000003748: 80104310
	s_addc_u32 s17, 0, s17                                     // 00000000374C: 82111180
	s_sub_u32 s18, s18, s67                                    // 000000003750: 80924312
	s_add_u32 s24, s24, s69                                    // 000000003754: 80184518
	s_addc_u32 s25, 0, s25                                     // 000000003758: 82191980
	s_sub_u32 s26, s26, s69                                    // 00000000375C: 809A451A
	s_addk_i32 s60, 0x100                                      // 000000003760: B73C0100
	s_cmp_lt_i32 s60, s61                                      // 000000003764: BF043D3C
	s_cbranch_scc0 label_048E                                  // 000000003768: BF8401B3
	s_waitcnt vmcnt(12) lgkmcnt(5)                             // 00000000376C: BF8C057C
	s_barrier                                                  // 000000003770: BF8A0000
	v_mfma_scale_f32_16x16x128_f8f6f4 a[0:3], v[120:123], v[56:59], a[0:3], v143, v139 op_sel_hi:[0,0,0] cbsz:4 blgp:4// 000000003774: D3AC6000 0003178F D3AD8C00 84027178
	ds_read_b128 v[24:27], v146                                // 000000003784: D9FE0000 18000092
	v_mfma_scale_f32_16x16x128_f8f6f4 a[4:7], v[120:123], v[60:63], a[4:7], v143, v139 op_sel_hi:[0,0,0] cbsz:4 blgp:4// 00000000378C: D3AC7000 0003178F D3AD8C04 84127978
	s_add_u32 m0, 0xc00, s65                                   // 00000000379C: 807C41FF 00000C00
	buffer_load_dword v149, s[20:23], 0 offen lds              // 0000000037A4: E0511000 80050095
	v_mfma_scale_f32_16x16x128_f8f6f4 a[8:11], v[124:127], v[56:59], a[8:11], v143, v139 op_sel_hi:[0,0,0] cbsz:4 blgp:4// 0000000037AC: D3AC6800 0003178F D3AD8C08 8422717C
	ds_read_b128 v[32:35], v146 offset:64                      // 0000000037BC: D9FE0040 20000092
	v_mfma_scale_f32_16x16x128_f8f6f4 a[12:15], v[124:127], v[60:63], a[12:15], v143, v139 op_sel_hi:[0,0,0] cbsz:4 blgp:4// 0000000037C4: D3AC7800 0003178F D3AD8C0C 8432797C
	s_add_u32 m0, 0x3180, s64                                  // 0000000037D4: 807C40FF 00003180
	buffer_load_dwordx4 v144, s[12:15], 0 offen lds            // 0000000037DC: E05D1000 80030090
	v_mfma_scale_f32_16x16x128_f8f6f4 a[0:3], v[128:131], v[64:67], a[0:3], v143, v139 op_sel_hi:[0,0,0] cbsz:4 blgp:4// 0000000037E4: D3AC6000 1803178F D3AD8C00 84028180
	s_add_u32 s62, 0x500, s60                                  // 0000000037F4: 803E3CFF 00000500
	ds_read_b128 v[28:31], v146 offset:512                     // 0000000037FC: D9FE0200 1C000092
	v_mfma_scale_f32_16x16x128_f8f6f4 a[4:7], v[128:131], v[68:71], a[4:7], v143, v139 op_sel_hi:[0,0,0] cbsz:4 blgp:4// 000000003804: D3AC5000 1803178F D3AD8C04 84128980
	s_cmp_lt_u32 s62, s61                                      // 000000003814: BF0A3D3E
	buffer_load_dwordx4 v[104:107], v151, s[16:19], 0 offen    // 000000003818: E05C1000 80046897
	v_mfma_scale_f32_16x16x128_f8f6f4 a[8:11], v[132:135], v[64:67], a[8:11], v143, v139 op_sel_hi:[0,0,0] cbsz:4 blgp:4// 000000003820: D3AC6800 1803178F D3AD8C08 84228184
	s_cselect_b32 s66, s66, 0                                  // 000000003830: 85428042
	ds_read_b128 v[36:39], v146 offset:576                     // 000000003834: D9FE0240 24000092
	v_mfma_scale_f32_16x16x128_f8f6f4 a[12:15], v[132:135], v[68:71], a[12:15], v143, v139 op_sel_hi:[0,0,0] cbsz:4 blgp:4// 00000000383C: D3AC7800 1803178F D3AD8C0C 84328984
	s_cselect_b32 s68, s68, 0                                  // 00000000384C: 85448044
	buffer_load_dwordx4 v[108:111], v152, s[16:19], 0 offen    // 000000003850: E05C1000 80046C98
	ds_read_b32 v137, v150 offset:1024                         // 000000003858: D86C0400 89000096
	s_add_u32 s12, s12, s66                                    // 000000003860: 800C420C
	s_addc_u32 s13, 0, s13                                     // 000000003864: 820D0D80
	buffer_load_dwordx4 v[112:115], v151, s[16:19], 0 offen offset:1024// 000000003868: E05C1400 80047097
	s_sub_u32 s14, s14, s66                                    // 000000003870: 808E420E
	s_add_u32 s20, s20, s68                                    // 000000003874: 80144414
	buffer_load_dwordx4 v[116:119], v152, s[16:19], 0 offen offset:1024// 000000003878: E05C1400 80047498
	s_addc_u32 s21, 0, s21                                     // 000000003880: 82151580
	s_sub_u32 s22, s22, s68                                    // 000000003884: 80964416
	buffer_load_dword v142, v153, s[24:27], 0 offen            // 000000003888: E0501000 80068E99
	s_add_u32 s63, 0x400, s60                                  // 000000003890: 803F3CFF 00000400
	s_cmp_lt_u32 s63, s61                                      // 000000003898: BF0A3D3F
	s_cselect_b32 s67, s67, 0                                  // 00000000389C: 85438043
	s_cselect_b32 s69, s69, 0                                  // 0000000038A0: 85458045
	s_add_u32 s16, s16, s67                                    // 0000000038A4: 80104310
	s_addc_u32 s17, 0, s17                                     // 0000000038A8: 82111180
	s_sub_u32 s18, s18, s67                                    // 0000000038AC: 80924312
	s_add_u32 s24, s24, s69                                    // 0000000038B0: 80184518
	s_addc_u32 s25, 0, s25                                     // 0000000038B4: 82191980
	s_sub_u32 s26, s26, s69                                    // 0000000038B8: 809A451A
	s_addk_i32 s60, 0x100                                      // 0000000038BC: B73C0100
	s_cmp_lt_i32 s60, s61                                      // 0000000038C0: BF043D3C
	s_cbranch_scc0 label_048E                                  // 0000000038C4: BF84015C
	s_branch label_01D8                                        // 0000000038C8: BF82FEA5

00000000000038cc <label_0333>:
	s_waitcnt vmcnt(12) lgkmcnt(5)                             // 0000000038CC: BF8C057C
	s_barrier                                                  // 0000000038D0: BF8A0000
	v_mfma_scale_f32_16x16x128_f8f6f4 a[0:3], v[72:75], v[8:11], a[0:3], v140, v136 op_sel_hi:[0,0,0] cbsz:4 blgp:4// 0000000038D4: D3AC6000 0003118C D3AD8C00 84021148
	s_add_u32 m0, 0, s65                                       // 0000000038E4: 807C4180
	buffer_load_dword v149, s[20:23], 0 offen lds              // 0000000038E8: E0511000 80050095
	v_mfma_scale_f32_16x16x128_f8f6f4 a[4:7], v[72:75], v[12:15], a[4:7], v140, v136 op_sel_hi:[0,0,0] cbsz:4 blgp:4// 0000000038F0: D3AC7000 0003118C D3AD8C04 84121948
	ds_read_b128 v[40:43], v147                                // 000000003900: D9FE0000 28000093
	v_mfma_scale_f32_16x16x128_f8f6f4 a[8:11], v[76:79], v[8:11], a[8:11], v140, v136 op_sel_hi:[0,0,0] cbsz:4 blgp:4// 000000003908: D3AC6800 0003118C D3AD8C08 8422114C
	s_add_u32 m0, 0, s64                                       // 000000003918: 807C4080
	buffer_load_dwordx4 v144, s[12:15], 0 offen lds            // 00000000391C: E05D1000 80030090
	v_mfma_scale_f32_16x16x128_f8f6f4 a[12:15], v[76:79], v[12:15], a[12:15], v140, v136 op_sel_hi:[0,0,0] cbsz:4 blgp:4// 000000003924: D3AC7800 0003118C D3AD8C0C 8432194C
	s_add_u32 s62, 0x500, s60                                  // 000000003934: 803E3CFF 00000500
	ds_read_b128 v[48:51], v147 offset:64                      // 00000000393C: D9FE0040 30000093
	v_mfma_scale_f32_16x16x128_f8f6f4 a[0:3], v[80:83], v[16:19], a[0:3], v140, v136 op_sel_hi:[0,0,0] cbsz:4 blgp:4// 000000003944: D3AC6000 1803118C D3AD8C00 84022150
	s_cmp_lt_u32 s62, s61                                      // 000000003954: BF0A3D3E
	buffer_load_dwordx4 v[120:123], v151, s[16:19], 0 offen    // 000000003958: E05C1000 80047897
	v_mfma_scale_f32_16x16x128_f8f6f4 a[4:7], v[80:83], v[20:23], a[4:7], v140, v136 op_sel_hi:[0,0,0] cbsz:4 blgp:4// 000000003960: D3AC7000 1803118C D3AD8C04 84122950
	s_cselect_b32 s66, s66, 0                                  // 000000003970: 85428042
	ds_read_b128 v[44:47], v147 offset:512                     // 000000003974: D9FE0200 2C000093
	v_mfma_scale_f32_16x16x128_f8f6f4 a[8:11], v[84:87], v[16:19], a[8:11], v140, v136 op_sel_hi:[0,0,0] cbsz:4 blgp:4// 00000000397C: D3AC6800 1803118C D3AD8C08 84222154
	s_cselect_b32 s68, s68, 0                                  // 00000000398C: 85448044
	buffer_load_dwordx4 v[124:127], v152, s[16:19], 0 offen    // 000000003990: E05C1000 80047C98
	v_mfma_scale_f32_16x16x128_f8f6f4 a[12:15], v[84:87], v[20:23], a[12:15], v140, v136 op_sel_hi:[0,0,0] cbsz:4 blgp:4// 000000003998: D3AC7800 1803118C D3AD8C0C 84322954
	s_add_u32 s12, s12, s66                                    // 0000000039A8: 800C420C
	ds_read_b128 v[52:55], v147 offset:576                     // 0000000039AC: D9FE0240 34000093
	ds_read_b32 v138, v150 offset:2048                         // 0000000039B4: D86C0800 8A000096
	s_addc_u32 s13, 0, s13                                     // 0000000039BC: 820D0D80
	buffer_load_dwordx4 v[128:131], v151, s[16:19], 0 offen offset:1024// 0000000039C0: E05C1400 80048097
	s_sub_u32 s14, s14, s66                                    // 0000000039C8: 808E420E
	s_add_u32 s20, s20, s68                                    // 0000000039CC: 80144414
	buffer_load_dwordx4 v[132:135], v152, s[16:19], 0 offen offset:1024// 0000000039D0: E05C1400 80048498
	s_addc_u32 s21, 0, s21                                     // 0000000039D8: 82151580
	s_sub_u32 s22, s22, s68                                    // 0000000039DC: 80964416
	buffer_load_dword v143, v153, s[24:27], 0 offen            // 0000000039E0: E0501000 80068F99
	s_add_u32 s63, 0x400, s60                                  // 0000000039E8: 803F3CFF 00000400
	s_cmp_lt_u32 s63, s61                                      // 0000000039F0: BF0A3D3F
	s_cselect_b32 s67, s67, 0                                  // 0000000039F4: 85438043
	s_cselect_b32 s69, s69, 0                                  // 0000000039F8: 85458045
	s_add_u32 s16, s16, s67                                    // 0000000039FC: 80104310
	s_addc_u32 s17, 0, s17                                     // 000000003A00: 82111180
	s_sub_u32 s18, s18, s67                                    // 000000003A04: 80924312
	s_add_u32 s24, s24, s69                                    // 000000003A08: 80184518
	s_addc_u32 s25, 0, s25                                     // 000000003A0C: 82191980
	s_sub_u32 s26, s26, s69                                    // 000000003A10: 809A451A
	s_addk_i32 s60, 0x100                                      // 000000003A14: B73C0100
	s_cmp_lt_i32 s60, s61                                      // 000000003A18: BF043D3C
	s_cbranch_scc0 label_048E                                  // 000000003A1C: BF840106
	s_waitcnt vmcnt(12) lgkmcnt(5)                             // 000000003A20: BF8C057C
	s_barrier                                                  // 000000003A24: BF8A0000
	v_mfma_scale_f32_16x16x128_f8f6f4 a[0:3], v[88:91], v[24:27], a[0:3], v141, v137 op_sel_hi:[0,0,0] cbsz:4 blgp:4// 000000003A28: D3AC6000 0003138D D3AD8C00 84023158
	s_add_u32 m0, 0x400, s65                                   // 000000003A38: 807C41FF 00000400
	buffer_load_dword v149, s[20:23], 0 offen lds              // 000000003A40: E0511000 80050095
	v_mfma_scale_f32_16x16x128_f8f6f4 a[4:7], v[88:91], v[28:31], a[4:7], v141, v137 op_sel_hi:[0,0,0] cbsz:4 blgp:4// 000000003A48: D3AC7000 0003138D D3AD8C04 84123958
	ds_read_b128 v[56:59], v148                                // 000000003A58: D9FE0000 38000094
	v_mfma_scale_f32_16x16x128_f8f6f4 a[8:11], v[92:95], v[24:27], a[8:11], v141, v137 op_sel_hi:[0,0,0] cbsz:4 blgp:4// 000000003A60: D3AC6800 0003138D D3AD8C08 8422315C
	s_add_u32 m0, 0x1080, s64                                  // 000000003A70: 807C40FF 00001080
	buffer_load_dwordx4 v144, s[12:15], 0 offen lds            // 000000003A78: E05D1000 80030090
	v_mfma_scale_f32_16x16x128_f8f6f4 a[12:15], v[92:95], v[28:31], a[12:15], v141, v137 op_sel_hi:[0,0,0] cbsz:4 blgp:4// 000000003A80: D3AC7800 0003138D D3AD8C0C 8432395C
	s_add_u32 s62, 0x500, s60                                  // 000000003A90: 803E3CFF 00000500
	ds_read_b128 v[64:67], v148 offset:64                      // 000000003A98: D9FE0040 40000094
	v_mfma_scale_f32_16x16x128_f8f6f4 a[0:3], v[96:99], v[32:35], a[0:3], v141, v137 op_sel_hi:[0,0,0] cbsz:4 blgp:4// 000000003AA0: D3AC6000 1803138D D3AD8C00 84024160
	s_cmp_lt_u32 s62, s61                                      // 000000003AB0: BF0A3D3E
	buffer_load_dwordx4 v[72:75], v151, s[16:19], 0 offen      // 000000003AB4: E05C1000 80044897
	v_mfma_scale_f32_16x16x128_f8f6f4 a[4:7], v[96:99], v[36:39], a[4:7], v141, v137 op_sel_hi:[0,0,0] cbsz:4 blgp:4// 000000003ABC: D3AC7000 1803138D D3AD8C04 84124960
	s_cselect_b32 s66, s66, 0                                  // 000000003ACC: 85428042
	ds_read_b128 v[60:63], v148 offset:512                     // 000000003AD0: D9FE0200 3C000094
	v_mfma_scale_f32_16x16x128_f8f6f4 a[8:11], v[100:103], v[32:35], a[8:11], v141, v137 op_sel_hi:[0,0,0] cbsz:4 blgp:4// 000000003AD8: D3AC6800 1803138D D3AD8C08 84224164
	s_cselect_b32 s68, s68, 0                                  // 000000003AE8: 85448044
	buffer_load_dwordx4 v[76:79], v152, s[16:19], 0 offen      // 000000003AEC: E05C1000 80044C98
	v_mfma_scale_f32_16x16x128_f8f6f4 a[12:15], v[100:103], v[36:39], a[12:15], v141, v137 op_sel_hi:[0,0,0] cbsz:4 blgp:4// 000000003AF4: D3AC5800 1803138D D3AD8C0C 84324964
	s_add_u32 s12, s12, s66                                    // 000000003B04: 800C420C
	ds_read_b128 v[68:71], v148 offset:576                     // 000000003B08: D9FE0240 44000094
	ds_read_b32 v139, v150 offset:3072                         // 000000003B10: D86C0C00 8B000096
	s_addc_u32 s13, 0, s13                                     // 000000003B18: 820D0D80
	buffer_load_dwordx4 v[80:83], v151, s[16:19], 0 offen offset:1024// 000000003B1C: E05C1400 80045097
	s_sub_u32 s14, s14, s66                                    // 000000003B24: 808E420E
	s_add_u32 s20, s20, s68                                    // 000000003B28: 80144414
	buffer_load_dwordx4 v[84:87], v152, s[16:19], 0 offen offset:1024// 000000003B2C: E05C1400 80045498
	s_addc_u32 s21, 0, s21                                     // 000000003B34: 82151580
	s_sub_u32 s22, s22, s68                                    // 000000003B38: 80964416
	buffer_load_dword v140, v153, s[24:27], 0 offen            // 000000003B3C: E0501000 80068C99
	s_add_u32 s63, 0x400, s60                                  // 000000003B44: 803F3CFF 00000400
	s_cmp_lt_u32 s63, s61                                      // 000000003B4C: BF0A3D3F
	s_cselect_b32 s67, s67, 0                                  // 000000003B50: 85438043
	s_cselect_b32 s69, s69, 0                                  // 000000003B54: 85458045
	s_add_u32 s16, s16, s67                                    // 000000003B58: 80104310
	s_addc_u32 s17, 0, s17                                     // 000000003B5C: 82111180
	s_sub_u32 s18, s18, s67                                    // 000000003B60: 80924312
	s_add_u32 s24, s24, s69                                    // 000000003B64: 80184518
	s_addc_u32 s25, 0, s25                                     // 000000003B68: 82191980
	s_sub_u32 s26, s26, s69                                    // 000000003B6C: 809A451A
	s_addk_i32 s60, 0x100                                      // 000000003B70: B73C0100
	s_cmp_lt_i32 s60, s61                                      // 000000003B74: BF043D3C
	s_cbranch_scc0 label_048E                                  // 000000003B78: BF8400AF
	s_waitcnt vmcnt(12) lgkmcnt(5)                             // 000000003B7C: BF8C057C
	s_barrier                                                  // 000000003B80: BF8A0000
	v_mfma_scale_f32_16x16x128_f8f6f4 a[0:3], v[104:107], v[40:43], a[0:3], v142, v138 op_sel_hi:[0,0,0] cbsz:4 blgp:4// 000000003B84: D3AC6000 0003158E D3AD8C00 84025168
	s_add_u32 m0, 0x800, s65                                   // 000000003B94: 807C41FF 00000800
	buffer_load_dword v149, s[20:23], 0 offen lds              // 000000003B9C: E0511000 80050095
	v_mfma_scale_f32_16x16x128_f8f6f4 a[4:7], v[104:107], v[44:47], a[4:7], v142, v138 op_sel_hi:[0,0,0] cbsz:4 blgp:4// 000000003BA4: D3AC5000 0003158E D3AD8C04 84125968
	ds_read_b128 v[8:11], v145                                 // 000000003BB4: D9FE0000 08000091
	v_mfma_scale_f32_16x16x128_f8f6f4 a[8:11], v[108:111], v[40:43], a[8:11], v142, v138 op_sel_hi:[0,0,0] cbsz:4 blgp:4// 000000003BBC: D3AC6800 0003158E D3AD8C08 8422516C
	s_add_u32 m0, 0x2100, s64                                  // 000000003BCC: 807C40FF 00002100
	buffer_load_dwordx4 v144, s[12:15], 0 offen lds            // 000000003BD4: E05D1000 80030090
	v_mfma_scale_f32_16x16x128_f8f6f4 a[12:15], v[108:111], v[44:47], a[12:15], v142, v138 op_sel_hi:[0,0,0] cbsz:4 blgp:4// 000000003BDC: D3AC7800 0003158E D3AD8C0C 8432596C
	s_add_u32 s62, 0x500, s60                                  // 000000003BEC: 803E3CFF 00000500
	ds_read_b128 v[16:19], v145 offset:64                      // 000000003BF4: D9FE0040 10000091
	v_mfma_scale_f32_16x16x128_f8f6f4 a[0:3], v[112:115], v[48:51], a[0:3], v142, v138 op_sel_hi:[0,0,0] cbsz:4 blgp:4// 000000003BFC: D3AC2000 1803158E D3AD8C00 84026170
	s_cmp_lt_u32 s62, s61                                      // 000000003C0C: BF0A3D3E
	buffer_load_dwordx4 v[88:91], v151, s[16:19], 0 offen      // 000000003C10: E05C1000 80045897
	v_mfma_scale_f32_16x16x128_f8f6f4 a[4:7], v[112:115], v[52:55], a[4:7], v142, v138 op_sel_hi:[0,0,0] cbsz:4 blgp:4// 000000003C18: D3AC5000 1803158E D3AD8C04 84126970
	s_cselect_b32 s66, s66, 0                                  // 000000003C28: 85428042
	ds_read_b128 v[12:15], v145 offset:512                     // 000000003C2C: D9FE0200 0C000091
	v_mfma_scale_f32_16x16x128_f8f6f4 a[8:11], v[116:119], v[48:51], a[8:11], v142, v138 op_sel_hi:[0,0,0] cbsz:4 blgp:4// 000000003C34: D3AC6800 1803158E D3AD8C08 84226174
	s_cselect_b32 s68, s68, 0                                  // 000000003C44: 85448044
	buffer_load_dwordx4 v[92:95], v152, s[16:19], 0 offen      // 000000003C48: E05C1000 80045C98
	v_mfma_scale_f32_16x16x128_f8f6f4 a[12:15], v[116:119], v[52:55], a[12:15], v142, v138 op_sel_hi:[0,0,0] cbsz:4 blgp:4// 000000003C50: D3AC5800 1803158E D3AD8C0C 84326974
	s_add_u32 s12, s12, s66                                    // 000000003C60: 800C420C
	ds_read_b128 v[20:23], v145 offset:576                     // 000000003C64: D9FE0240 14000091
	ds_read_b32 v136, v150                                     // 000000003C6C: D86C0000 88000096
	s_addc_u32 s13, 0, s13                                     // 000000003C74: 820D0D80
	buffer_load_dwordx4 v[96:99], v151, s[16:19], 0 offen offset:1024// 000000003C78: E05C1400 80046097
	s_sub_u32 s14, s14, s66                                    // 000000003C80: 808E420E
	s_add_u32 s20, s20, s68                                    // 000000003C84: 80144414
	buffer_load_dwordx4 v[100:103], v152, s[16:19], 0 offen offset:1024// 000000003C88: E05C1400 80046498
	s_addc_u32 s21, 0, s21                                     // 000000003C90: 82151580
	s_sub_u32 s22, s22, s68                                    // 000000003C94: 80964416
	buffer_load_dword v141, v153, s[24:27], 0 offen            // 000000003C98: E0501000 80068D99
	s_add_u32 s63, 0x400, s60                                  // 000000003CA0: 803F3CFF 00000400
	s_cmp_lt_u32 s63, s61                                      // 000000003CA8: BF0A3D3F
	s_cselect_b32 s67, s67, 0                                  // 000000003CAC: 85438043
	s_cselect_b32 s69, s69, 0                                  // 000000003CB0: 85458045
	s_add_u32 s16, s16, s67                                    // 000000003CB4: 80104310
	s_addc_u32 s17, 0, s17                                     // 000000003CB8: 82111180
	s_sub_u32 s18, s18, s67                                    // 000000003CBC: 80924312
	s_add_u32 s24, s24, s69                                    // 000000003CC0: 80184518
	s_addc_u32 s25, 0, s25                                     // 000000003CC4: 82191980
	s_sub_u32 s26, s26, s69                                    // 000000003CC8: 809A451A
	s_addk_i32 s60, 0x100                                      // 000000003CCC: B73C0100
	s_cmp_lt_i32 s60, s61                                      // 000000003CD0: BF043D3C
	s_cbranch_scc0 label_048E                                  // 000000003CD4: BF840058
	s_waitcnt vmcnt(12) lgkmcnt(5)                             // 000000003CD8: BF8C057C
	s_barrier                                                  // 000000003CDC: BF8A0000
	v_mfma_scale_f32_16x16x128_f8f6f4 a[0:3], v[120:123], v[56:59], a[0:3], v143, v139 op_sel_hi:[0,0,0] cbsz:4 blgp:4// 000000003CE0: D3AC6000 0003178F D3AD8C00 84027178
	s_add_u32 m0, 0xc00, s65                                   // 000000003CF0: 807C41FF 00000C00
	buffer_load_dword v149, s[20:23], 0 offen lds              // 000000003CF8: E0511000 80050095
	v_mfma_scale_f32_16x16x128_f8f6f4 a[4:7], v[120:123], v[60:63], a[4:7], v143, v139 op_sel_hi:[0,0,0] cbsz:4 blgp:4// 000000003D00: D3AC7000 0003178F D3AD8C04 84127978
	ds_read_b128 v[24:27], v146                                // 000000003D10: D9FE0000 18000092
	v_mfma_scale_f32_16x16x128_f8f6f4 a[8:11], v[124:127], v[56:59], a[8:11], v143, v139 op_sel_hi:[0,0,0] cbsz:4 blgp:4// 000000003D18: D3AC6800 0003178F D3AD8C08 8422717C
	s_add_u32 m0, 0x3180, s64                                  // 000000003D28: 807C40FF 00003180
	buffer_load_dwordx4 v144, s[12:15], 0 offen lds            // 000000003D30: E05D1000 80030090
	v_mfma_scale_f32_16x16x128_f8f6f4 a[12:15], v[124:127], v[60:63], a[12:15], v143, v139 op_sel_hi:[0,0,0] cbsz:4 blgp:4// 000000003D38: D3AC7800 0003178F D3AD8C0C 8432797C
	s_add_u32 s62, 0x500, s60                                  // 000000003D48: 803E3CFF 00000500
	ds_read_b128 v[32:35], v146 offset:64                      // 000000003D50: D9FE0040 20000092
	v_mfma_scale_f32_16x16x128_f8f6f4 a[0:3], v[128:131], v[64:67], a[0:3], v143, v139 op_sel_hi:[0,0,0] cbsz:4 blgp:4// 000000003D58: D3AC6000 1803178F D3AD8C00 84028180
	s_cmp_lt_u32 s62, s61                                      // 000000003D68: BF0A3D3E
	buffer_load_dwordx4 v[104:107], v151, s[16:19], 0 offen    // 000000003D6C: E05C1000 80046897
	v_mfma_scale_f32_16x16x128_f8f6f4 a[4:7], v[128:131], v[68:71], a[4:7], v143, v139 op_sel_hi:[0,0,0] cbsz:4 blgp:4// 000000003D74: D3AC7000 1803178F D3AD8C04 84128980
	s_cselect_b32 s66, s66, 0                                  // 000000003D84: 85428042
	ds_read_b128 v[28:31], v146 offset:512                     // 000000003D88: D9FE0200 1C000092
	v_mfma_scale_f32_16x16x128_f8f6f4 a[8:11], v[132:135], v[64:67], a[8:11], v143, v139 op_sel_hi:[0,0,0] cbsz:4 blgp:4// 000000003D90: D3AC2800 1803178F D3AD8C08 84228184
	s_cselect_b32 s68, s68, 0                                  // 000000003DA0: 85448044
	buffer_load_dwordx4 v[108:111], v152, s[16:19], 0 offen    // 000000003DA4: E05C1000 80046C98
	v_mfma_scale_f32_16x16x128_f8f6f4 a[12:15], v[132:135], v[68:71], a[12:15], v143, v139 op_sel_hi:[0,0,0] cbsz:4 blgp:4// 000000003DAC: D3AC7800 1803178F D3AD8C0C 84328984
	s_add_u32 s12, s12, s66                                    // 000000003DBC: 800C420C
	ds_read_b128 v[36:39], v146 offset:576                     // 000000003DC0: D9FE0240 24000092
	ds_read_b32 v137, v150 offset:1024                         // 000000003DC8: D86C0400 89000096
	s_addc_u32 s13, 0, s13                                     // 000000003DD0: 820D0D80
	buffer_load_dwordx4 v[112:115], v151, s[16:19], 0 offen offset:1024// 000000003DD4: E05C1400 80047097
	s_sub_u32 s14, s14, s66                                    // 000000003DDC: 808E420E
	s_add_u32 s20, s20, s68                                    // 000000003DE0: 80144414
	buffer_load_dwordx4 v[116:119], v152, s[16:19], 0 offen offset:1024// 000000003DE4: E05C1400 80047498
	s_addc_u32 s21, 0, s21                                     // 000000003DEC: 82151580
	s_sub_u32 s22, s22, s68                                    // 000000003DF0: 80964416
	buffer_load_dword v142, v153, s[24:27], 0 offen            // 000000003DF4: E0501000 80068E99
	s_add_u32 s63, 0x400, s60                                  // 000000003DFC: 803F3CFF 00000400
	s_cmp_lt_u32 s63, s61                                      // 000000003E04: BF0A3D3F
	s_cselect_b32 s67, s67, 0                                  // 000000003E08: 85438043
	s_cselect_b32 s69, s69, 0                                  // 000000003E0C: 85458045
	s_add_u32 s16, s16, s67                                    // 000000003E10: 80104310
	s_addc_u32 s17, 0, s17                                     // 000000003E14: 82111180
	s_sub_u32 s18, s18, s67                                    // 000000003E18: 80924312
	s_add_u32 s24, s24, s69                                    // 000000003E1C: 80184518
	s_addc_u32 s25, 0, s25                                     // 000000003E20: 82191980
	s_sub_u32 s26, s26, s69                                    // 000000003E24: 809A451A
	s_addk_i32 s60, 0x100                                      // 000000003E28: B73C0100
	s_cmp_lt_i32 s60, s61                                      // 000000003E2C: BF043D3C
	s_cbranch_scc0 label_048E                                  // 000000003E30: BF840001
	s_branch label_0333                                        // 000000003E34: BF82FEA5

0000000000003e38 <label_048E>:
	s_waitcnt lgkmcnt(0)                                       // 000000003E38: BF8CC07F
	s_mul_i32 s62, s47, 0x80                                   // 000000003E3C: 923EFF2F 00000080
	s_mul_i32 s63, s46, 32                                     // 000000003E44: 923FA02E
	s_add_u32 s60, s62, s63                                    // 000000003E48: 803C3F3E
	s_add_u32 s62, s60, 32                                     // 000000003E4C: 803EA03C
	s_cmp_lt_i32 s44, s62                                      // 000000003E50: BF043E2C
	s_cbranch_scc1 label_04D9                                  // 000000003E54: BF850043
	s_mul_i32 s62, s36, 16                                     // 000000003E58: 923E9024
	v_add_u32_e32 v158, 0, v154                                // 000000003E5C: 693D3480
	v_accvgpr_read_b32 v8, a0                                  // 000000003E60: D3D84008 18000100
	v_accvgpr_read_b32 v9, a1                                  // 000000003E68: D3D84009 18000101
	v_accvgpr_read_b32 v10, a2                                 // 000000003E70: D3D8400A 18000102
	v_accvgpr_read_b32 v11, a3                                 // 000000003E78: D3D8400B 18000103
	v_accvgpr_read_b32 v12, a8                                 // 000000003E80: D3D8400C 18000108
	v_accvgpr_read_b32 v13, a9                                 // 000000003E88: D3D8400D 18000109
	v_accvgpr_read_b32 v14, a10                                // 000000003E90: D3D8400E 1800010A
	v_accvgpr_read_b32 v15, a11                                // 000000003E98: D3D8400F 1800010B
	v_cvt_pk_bf16_f32 v16, v8, v9                              // 000000003EA0: D2680010 00021308
	v_cvt_pk_bf16_f32 v17, v10, v11                            // 000000003EA8: D2680011 0002170A
	v_cvt_pk_bf16_f32 v18, v12, v13                            // 000000003EB0: D2680012 00021B0C
	v_cvt_pk_bf16_f32 v19, v14, v15                            // 000000003EB8: D2680013 00021F0E
	s_nop 1                                                    // 000000003EC0: BF800001
	v_permlane16_swap_b32_e32 v16, v18                         // 000000003EC4: 7E20B312
	s_nop 1                                                    // 000000003EC8: BF800001
	v_permlane16_swap_b32_e32 v17, v19                         // 000000003ECC: 7E22B313
	s_nop 1                                                    // 000000003ED0: BF800001
	buffer_store_dwordx4 v[16:19], v158, s[4:7], 0 offen       // 000000003ED4: E07C1000 8001109E
	v_add_u32_e32 v158, s62, v158                              // 000000003EDC: 693D3C3E
	v_accvgpr_read_b32 v8, a4                                  // 000000003EE0: D3D84008 18000104
	v_accvgpr_read_b32 v9, a5                                  // 000000003EE8: D3D84009 18000105
	v_accvgpr_read_b32 v10, a6                                 // 000000003EF0: D3D8400A 18000106
	v_accvgpr_read_b32 v11, a7                                 // 000000003EF8: D3D8400B 18000107
	v_accvgpr_read_b32 v12, a12                                // 000000003F00: D3D8400C 1800010C
	v_accvgpr_read_b32 v13, a13                                // 000000003F08: D3D8400D 1800010D
	v_accvgpr_read_b32 v14, a14                                // 000000003F10: D3D8400E 1800010E
	v_accvgpr_read_b32 v15, a15                                // 000000003F18: D3D8400F 1800010F
	v_cvt_pk_bf16_f32 v16, v8, v9                              // 000000003F20: D2680010 00021308
	v_cvt_pk_bf16_f32 v17, v10, v11                            // 000000003F28: D2680011 0002170A
	v_cvt_pk_bf16_f32 v18, v12, v13                            // 000000003F30: D2680012 00021B0C
	v_cvt_pk_bf16_f32 v19, v14, v15                            // 000000003F38: D2680013 00021F0E
	s_nop 1                                                    // 000000003F40: BF800001
	v_permlane16_swap_b32_e32 v16, v18                         // 000000003F44: 7E20B312
	s_nop 1                                                    // 000000003F48: BF800001
	v_permlane16_swap_b32_e32 v17, v19                         // 000000003F4C: 7E22B313
	s_nop 1                                                    // 000000003F50: BF800001
	buffer_store_dwordx4 v[16:19], v158, s[4:7], 0 offen       // 000000003F54: E07C1000 8001109E
	v_add_u32_e32 v158, s62, v158                              // 000000003F5C: 693D3C3E
	s_branch label_051E                                        // 000000003F60: BF820045

0000000000003f64 <label_04D9>:
	s_mul_i32 s62, s36, 16                                     // 000000003F64: 923E9024
	s_cmp_lt_i32 s60, s44                                      // 000000003F68: BF042C3C
	s_cbranch_scc0 label_051E                                  // 000000003F6C: BF840042
	s_addk_i32 s60, 0x20                                       // 000000003F70: B73C0020
	v_add_u32_e32 v158, 0, v154                                // 000000003F74: 693D3480
	v_accvgpr_read_b32 v8, a0                                  // 000000003F78: D3D84008 18000100
	v_accvgpr_read_b32 v9, a1                                  // 000000003F80: D3D84009 18000101
	v_accvgpr_read_b32 v10, a2                                 // 000000003F88: D3D8400A 18000102
	v_accvgpr_read_b32 v11, a3                                 // 000000003F90: D3D8400B 18000103
	v_accvgpr_read_b32 v12, a8                                 // 000000003F98: D3D8400C 18000108
	v_accvgpr_read_b32 v13, a9                                 // 000000003FA0: D3D8400D 18000109
	v_accvgpr_read_b32 v14, a10                                // 000000003FA8: D3D8400E 1800010A
	v_accvgpr_read_b32 v15, a11                                // 000000003FB0: D3D8400F 1800010B
	v_cvt_pk_bf16_f32 v16, v8, v9                              // 000000003FB8: D2680010 00021308
	v_cvt_pk_bf16_f32 v17, v10, v11                            // 000000003FC0: D2680011 0002170A
	v_cvt_pk_bf16_f32 v18, v12, v13                            // 000000003FC8: D2680012 00021B0C
	v_cvt_pk_bf16_f32 v19, v14, v15                            // 000000003FD0: D2680013 00021F0E
	s_nop 1                                                    // 000000003FD8: BF800001
	v_permlane16_swap_b32_e32 v16, v18                         // 000000003FDC: 7E20B312
	s_nop 1                                                    // 000000003FE0: BF800001
	v_permlane16_swap_b32_e32 v17, v19                         // 000000003FE4: 7E22B313
	s_nop 1                                                    // 000000003FE8: BF800001
	buffer_store_dwordx4 v[16:19], v158, s[4:7], 0 offen       // 000000003FEC: E07C1000 8001109E
	v_add_u32_e32 v158, s62, v158                              // 000000003FF4: 693D3C3E
	v_accvgpr_read_b32 v8, a4                                  // 000000003FF8: D3D84008 18000104
	v_accvgpr_read_b32 v9, a5                                  // 000000004000: D3D84009 18000105
	v_accvgpr_read_b32 v10, a6                                 // 000000004008: D3D8400A 18000106
	v_accvgpr_read_b32 v11, a7                                 // 000000004010: D3D8400B 18000107
	v_accvgpr_read_b32 v12, a12                                // 000000004018: D3D8400C 1800010C
	v_accvgpr_read_b32 v13, a13                                // 000000004020: D3D8400D 1800010D
	v_accvgpr_read_b32 v14, a14                                // 000000004028: D3D8400E 1800010E
	v_accvgpr_read_b32 v15, a15                                // 000000004030: D3D8400F 1800010F
	v_cvt_pk_bf16_f32 v16, v8, v9                              // 000000004038: D2680010 00021308
	v_cvt_pk_bf16_f32 v17, v10, v11                            // 000000004040: D2680011 0002170A
	v_cvt_pk_bf16_f32 v18, v12, v13                            // 000000004048: D2680012 00021B0C
	v_cvt_pk_bf16_f32 v19, v14, v15                            // 000000004050: D2680013 00021F0E
	s_nop 1                                                    // 000000004058: BF800001
	v_permlane16_swap_b32_e32 v16, v18                         // 00000000405C: 7E20B312
	s_nop 1                                                    // 000000004060: BF800001
	v_permlane16_swap_b32_e32 v17, v19                         // 000000004064: 7E22B313
	s_nop 1                                                    // 000000004068: BF800001
	buffer_store_dwordx4 v[16:19], v158, s[4:7], 0 offen       // 00000000406C: E07C1000 8001109E
	v_add_u32_e32 v158, s62, v158                              // 000000004074: 693D3C3E

0000000000004078 <label_051E>:
	s_waitcnt vmcnt(0) expcnt(0) lgkmcnt(0)                    // 000000004078: BF8C0000
	s_endpgm                                                   // 00000000407C: BF810000
